;; amdgpu-corpus repo=ROCm/rocFFT kind=compiled arch=gfx1201 opt=O3
	.text
	.amdgcn_target "amdgcn-amd-amdhsa--gfx1201"
	.amdhsa_code_object_version 6
	.protected	fft_rtc_back_len125_factors_5_5_5_wgs_500_tpt_25_dim2_sp_op_CI_CI_sbcc_twdbase8_3step_dirReg ; -- Begin function fft_rtc_back_len125_factors_5_5_5_wgs_500_tpt_25_dim2_sp_op_CI_CI_sbcc_twdbase8_3step_dirReg
	.globl	fft_rtc_back_len125_factors_5_5_5_wgs_500_tpt_25_dim2_sp_op_CI_CI_sbcc_twdbase8_3step_dirReg
	.p2align	8
	.type	fft_rtc_back_len125_factors_5_5_5_wgs_500_tpt_25_dim2_sp_op_CI_CI_sbcc_twdbase8_3step_dirReg,@function
fft_rtc_back_len125_factors_5_5_5_wgs_500_tpt_25_dim2_sp_op_CI_CI_sbcc_twdbase8_3step_dirReg: ; @fft_rtc_back_len125_factors_5_5_5_wgs_500_tpt_25_dim2_sp_op_CI_CI_sbcc_twdbase8_3step_dirReg
; %bb.0:
	s_load_b64 s[2:3], s[0:1], 0x10
	s_mov_b32 s5, 0
	s_mov_b32 s6, 0xcccc3000
	;; [unrolled: 1-line block ×4, first 2 shown]
	s_load_b64 s[14:15], s[0:1], 0x20
	s_add_nc_u64 s[8:9], s[4:5], s[6:7]
	s_movk_i32 s6, 0xffec
	s_mov_b32 s7, -1
	s_add_co_i32 s9, s9, 0xccccca0
	s_delay_alu instid0(SALU_CYCLE_1) | instskip(NEXT) | instid1(SALU_CYCLE_1)
	s_mul_u64 s[10:11], s[8:9], s[6:7]
	s_mul_hi_u32 s4, s8, s10
	s_mul_i32 s13, s9, s10
	s_mul_hi_u32 s12, s9, s10
	s_mul_hi_u32 s16, s9, s11
	s_mul_i32 s10, s9, s11
	s_wait_kmcnt 0x0
	s_load_b64 s[6:7], s[2:3], 0x8
	s_mul_hi_u32 s3, s8, s11
	s_mul_i32 s2, s8, s11
	s_delay_alu instid0(SALU_CYCLE_1) | instskip(NEXT) | instid1(SALU_CYCLE_1)
	s_add_nc_u64 s[2:3], s[4:5], s[2:3]
	s_add_co_u32 s2, s2, s13
	s_add_co_ci_u32 s4, s3, s12
	s_add_co_ci_u32 s11, s16, 0
	s_delay_alu instid0(SALU_CYCLE_1) | instskip(NEXT) | instid1(SALU_CYCLE_1)
	s_add_nc_u64 s[2:3], s[4:5], s[10:11]
	v_add_co_u32 v1, s2, s8, s2
	s_delay_alu instid0(VALU_DEP_1) | instskip(SKIP_1) | instid1(VALU_DEP_1)
	s_cmp_lg_u32 s2, 0
	s_add_co_ci_u32 s10, s9, s3
	v_readfirstlane_b32 s11, v1
	s_wait_kmcnt 0x0
	s_add_nc_u64 s[2:3], s[6:7], -1
	s_wait_alu 0xfffe
	s_mul_hi_u32 s9, s2, s10
	s_mul_i32 s8, s2, s10
	s_mul_hi_u32 s4, s2, s11
	s_mul_hi_u32 s13, s3, s11
	s_mul_i32 s11, s3, s11
	s_wait_alu 0xfffe
	s_add_nc_u64 s[8:9], s[4:5], s[8:9]
	s_mul_hi_u32 s12, s3, s10
	s_wait_alu 0xfffe
	s_add_co_u32 s4, s8, s11
	s_add_co_ci_u32 s4, s9, s13
	s_mul_i32 s10, s3, s10
	s_add_co_ci_u32 s11, s12, 0
	s_delay_alu instid0(SALU_CYCLE_1) | instskip(SKIP_2) | instid1(SALU_CYCLE_1)
	s_add_nc_u64 s[8:9], s[4:5], s[10:11]
	s_wait_alu 0xfffe
	s_mul_u64 s[10:11], s[8:9], 20
	v_sub_co_u32 v1, s2, s2, s10
	s_delay_alu instid0(VALU_DEP_1) | instskip(SKIP_1) | instid1(VALU_DEP_1)
	s_cmp_lg_u32 s2, 0
	s_sub_co_ci_u32 s12, s3, s11
	v_sub_co_u32 v2, s4, v1, 20
	s_delay_alu instid0(VALU_DEP_1) | instskip(SKIP_2) | instid1(VALU_DEP_1)
	s_cmp_lg_u32 s4, 0
	s_add_nc_u64 s[10:11], s[8:9], 2
	s_sub_co_ci_u32 s4, s12, 0
	v_readfirstlane_b32 s2, v2
	s_delay_alu instid0(VALU_DEP_1)
	s_cmp_gt_u32 s2, 19
	s_add_nc_u64 s[2:3], s[8:9], 1
	s_cselect_b32 s13, -1, 0
	s_cmp_eq_u32 s4, 0
	s_cselect_b32 s4, s13, -1
	v_readfirstlane_b32 s13, v1
	s_cmp_lg_u32 s4, 0
	s_wait_alu 0xfffe
	s_cselect_b32 s2, s10, s2
	s_cselect_b32 s3, s11, s3
	s_load_b64 s[10:11], s[0:1], 0x0
	s_cmp_gt_u32 s13, 19
	s_cselect_b32 s4, -1, 0
	s_cmp_eq_u32 s12, 0
	s_cselect_b32 s4, s4, -1
	s_delay_alu instid0(SALU_CYCLE_1)
	s_cmp_lg_u32 s4, 0
	s_mov_b32 s4, ttmp9
	s_cselect_b32 s3, s3, s9
	s_cselect_b32 s2, s2, s8
	s_wait_alu 0xfffe
	s_add_nc_u64 s[8:9], s[2:3], 1
	s_wait_alu 0xfffe
	v_cmp_lt_u64_e64 s2, s[4:5], s[8:9]
	s_delay_alu instid0(VALU_DEP_1)
	s_and_b32 vcc_lo, exec_lo, s2
	s_mov_b64 s[2:3], 0
	s_cbranch_vccnz .LBB0_2
; %bb.1:
	v_cvt_f32_u32_e32 v1, s8
	s_sub_co_i32 s3, 0, s8
	s_delay_alu instid0(VALU_DEP_1) | instskip(NEXT) | instid1(TRANS32_DEP_1)
	v_rcp_iflag_f32_e32 v1, v1
	v_mul_f32_e32 v1, 0x4f7ffffe, v1
	s_delay_alu instid0(VALU_DEP_1) | instskip(NEXT) | instid1(VALU_DEP_1)
	v_cvt_u32_f32_e32 v1, v1
	v_readfirstlane_b32 s2, v1
	s_wait_alu 0xfffe
	s_delay_alu instid0(VALU_DEP_1)
	s_mul_i32 s3, s3, s2
	s_wait_alu 0xfffe
	s_mul_hi_u32 s3, s2, s3
	s_wait_alu 0xfffe
	s_add_co_i32 s2, s2, s3
	s_wait_alu 0xfffe
	s_mul_hi_u32 s2, s4, s2
	s_wait_alu 0xfffe
	s_mul_i32 s3, s2, s8
	s_add_co_i32 s12, s2, 1
	s_wait_alu 0xfffe
	s_sub_co_i32 s3, s4, s3
	s_wait_alu 0xfffe
	s_sub_co_i32 s13, s3, s8
	s_cmp_ge_u32 s3, s8
	s_cselect_b32 s2, s12, s2
	s_cselect_b32 s3, s13, s3
	s_wait_alu 0xfffe
	s_add_co_i32 s12, s2, 1
	s_cmp_ge_u32 s3, s8
	s_mov_b32 s3, s5
	s_cselect_b32 s2, s12, s2
.LBB0_2:
	v_mul_u32_u24_e32 v1, 0xccd, v0
	s_wait_alu 0xfffe
	s_mul_u64 s[8:9], s[2:3], s[8:9]
                                        ; implicit-def: $vgpr7
                                        ; implicit-def: $vgpr5
                                        ; implicit-def: $vgpr9
                                        ; implicit-def: $vgpr11
                                        ; implicit-def: $vgpr3
	s_wait_alu 0xfffe
	s_sub_nc_u64 s[4:5], s[4:5], s[8:9]
	s_wait_alu 0xfffe
	s_mul_u64 s[8:9], s[4:5], 20
	v_lshrrev_b32_e32 v13, 16, v1
	s_delay_alu instid0(VALU_DEP_1) | instskip(NEXT) | instid1(VALU_DEP_1)
	v_mul_lo_u16 v1, v13, 20
	v_sub_nc_u16 v1, v0, v1
	s_delay_alu instid0(VALU_DEP_1) | instskip(SKIP_1) | instid1(VALU_DEP_1)
	v_and_b32_e32 v12, 0xffff, v1
	s_wait_alu 0xfffe
	v_add_co_u32 v1, s4, s8, v12
	s_wait_alu 0xf1ff
	v_add_co_ci_u32_e64 v2, null, s9, 0, s4
	s_add_nc_u64 s[4:5], s[8:9], 20
	s_wait_alu 0xfffe
	v_cmp_le_u64_e64 s4, s[4:5], s[6:7]
	s_delay_alu instid0(VALU_DEP_2) | instskip(NEXT) | instid1(VALU_DEP_2)
	v_cmp_gt_u64_e32 vcc_lo, s[6:7], v[1:2]
                                        ; kill: def $vgpr2 killed $sgpr0 killed $exec
	s_or_b32 s16, s4, vcc_lo
	s_delay_alu instid0(SALU_CYCLE_1)
	s_and_saveexec_b32 s12, s16
	s_cbranch_execz .LBB0_4
; %bb.3:
	s_clause 0x1
	s_load_b64 s[4:5], s[0:1], 0x18
	s_load_b64 s[18:19], s[0:1], 0x58
	v_add_nc_u32_e32 v19, 25, v13
	v_add_nc_u32_e32 v21, 0x4b, v13
	s_wait_kmcnt 0x0
	s_clause 0x1
	s_load_b64 s[20:21], s[4:5], 0x10
	s_load_b128 s[4:7], s[4:5], 0x0
	s_wait_kmcnt 0x0
	s_mul_u64 s[20:21], s[20:21], s[2:3]
	v_mad_co_u64_u32 v[2:3], null, s6, v12, 0
	v_mad_co_u64_u32 v[4:5], null, s4, v13, 0
	;; [unrolled: 1-line block ×4, first 2 shown]
	s_mul_u64 s[22:23], s[8:9], s[6:7]
	s_lshl_b64 s[20:21], s[20:21], 3
	s_delay_alu instid0(VALU_DEP_3) | instskip(SKIP_1) | instid1(VALU_DEP_4)
	v_mad_co_u64_u32 v[16:17], null, s7, v12, v[3:4]
	v_add_nc_u32_e32 v20, 50, v13
	v_mad_co_u64_u32 v[17:18], null, s5, v13, v[5:6]
	v_add_nc_u32_e32 v22, 0x64, v13
	s_lshl_b64 s[22:23], s[22:23], 3
	s_add_nc_u64 s[18:19], s[18:19], s[20:21]
	s_delay_alu instid0(VALU_DEP_4) | instskip(SKIP_1) | instid1(VALU_DEP_4)
	v_mov_b32_e32 v3, v16
	v_mad_co_u64_u32 v[8:9], null, s4, v20, 0
	v_mov_b32_e32 v5, v17
	v_mad_co_u64_u32 v[14:15], null, s4, v22, 0
	s_delay_alu instid0(VALU_DEP_4) | instskip(NEXT) | instid1(VALU_DEP_3)
	v_lshlrev_b64_e32 v[2:3], 3, v[2:3]
	v_lshlrev_b64_e32 v[4:5], 3, v[4:5]
	v_mad_co_u64_u32 v[18:19], null, s5, v19, v[7:8]
	v_mad_co_u64_u32 v[19:20], null, s5, v20, v[9:10]
	;; [unrolled: 1-line block ×4, first 2 shown]
	s_delay_alu instid0(VALU_DEP_4) | instskip(SKIP_1) | instid1(VALU_DEP_4)
	v_mov_b32_e32 v7, v18
	s_add_nc_u64 s[4:5], s[18:19], s[22:23]
	v_mov_b32_e32 v9, v19
	s_wait_alu 0xfffe
	v_add_co_u32 v16, vcc_lo, s4, v2
	v_lshlrev_b64_e32 v[6:7], 3, v[6:7]
	v_add_co_ci_u32_e32 v17, vcc_lo, s5, v3, vcc_lo
	v_mov_b32_e32 v11, v20
	v_lshlrev_b64_e32 v[8:9], 3, v[8:9]
	v_add_co_u32 v4, vcc_lo, v16, v4
	v_mov_b32_e32 v15, v21
	s_wait_alu 0xfffd
	v_add_co_ci_u32_e32 v5, vcc_lo, v17, v5, vcc_lo
	v_lshlrev_b64_e32 v[10:11], 3, v[10:11]
	v_add_co_u32 v6, vcc_lo, v16, v6
	s_wait_alu 0xfffd
	v_add_co_ci_u32_e32 v7, vcc_lo, v17, v7, vcc_lo
	v_lshlrev_b64_e32 v[2:3], 3, v[14:15]
	v_add_co_u32 v8, vcc_lo, v16, v8
	s_wait_alu 0xfffd
	v_add_co_ci_u32_e32 v9, vcc_lo, v17, v9, vcc_lo
	v_add_co_u32 v14, vcc_lo, v16, v10
	s_wait_alu 0xfffd
	v_add_co_ci_u32_e32 v15, vcc_lo, v17, v11, vcc_lo
	;; [unrolled: 3-line block ×3, first 2 shown]
	s_clause 0x4
	global_load_b64 v[2:3], v[4:5], off
	global_load_b64 v[10:11], v[6:7], off
	global_load_b64 v[8:9], v[8:9], off
	global_load_b64 v[4:5], v[14:15], off
	global_load_b64 v[6:7], v[16:17], off
.LBB0_4:
	s_or_b32 exec_lo, exec_lo, s12
	s_wait_loadcnt 0x1
	v_dual_add_f32 v14, v4, v8 :: v_dual_add_f32 v15, v10, v2
	s_wait_loadcnt 0x0
	v_dual_sub_f32 v19, v11, v7 :: v_dual_sub_f32 v18, v10, v8
	v_dual_sub_f32 v17, v9, v5 :: v_dual_sub_f32 v20, v6, v4
	s_delay_alu instid0(VALU_DEP_3)
	v_fma_f32 v14, -0.5, v14, v2
	v_add_f32_e32 v21, v6, v10
	v_sub_f32_e32 v22, v8, v10
	s_clause 0x1
	s_load_b64 s[12:13], s[14:15], 0x0
	s_load_b128 s[4:7], s[14:15], 0x8
	v_dual_fmamk_f32 v16, v19, 0xbf737871, v14 :: v_dual_add_f32 v15, v8, v15
	v_dual_fmac_f32 v2, -0.5, v21 :: v_dual_sub_f32 v23, v4, v6
	v_dual_add_f32 v21, v20, v18 :: v_dual_fmac_f32 v14, 0x3f737871, v19
	s_delay_alu instid0(VALU_DEP_2) | instskip(NEXT) | instid1(VALU_DEP_4)
	v_dual_add_f32 v15, v4, v15 :: v_dual_fmamk_f32 v18, v17, 0x3f737871, v2
	v_fmac_f32_e32 v16, 0xbf167918, v17
	s_delay_alu instid0(VALU_DEP_4) | instskip(SKIP_1) | instid1(VALU_DEP_4)
	v_add_f32_e32 v22, v23, v22
	v_add_f32_e32 v23, v11, v3
	;; [unrolled: 1-line block ×3, first 2 shown]
	v_sub_f32_e32 v6, v10, v6
	v_add_f32_e32 v24, v5, v9
	v_sub_f32_e32 v4, v8, v4
	v_fmac_f32_e32 v14, 0x3f167918, v17
	v_fmac_f32_e32 v16, 0x3e9e377a, v21
	v_sub_f32_e32 v8, v11, v9
	v_fma_f32 v15, -0.5, v24, v3
	v_fmac_f32_e32 v2, 0xbf737871, v17
	v_add_f32_e32 v10, v9, v23
	v_sub_f32_e32 v9, v9, v11
	s_delay_alu instid0(VALU_DEP_2) | instskip(SKIP_1) | instid1(VALU_DEP_2)
	v_dual_fmamk_f32 v17, v6, 0x3f737871, v15 :: v_dual_add_f32 v10, v5, v10
	v_fmac_f32_e32 v18, 0xbf167918, v19
	v_fmac_f32_e32 v17, 0x3f167918, v4
	;; [unrolled: 1-line block ×3, first 2 shown]
	v_sub_f32_e32 v21, v7, v5
	v_sub_f32_e32 v5, v5, v7
	s_delay_alu instid0(VALU_DEP_2) | instskip(NEXT) | instid1(VALU_DEP_2)
	v_add_f32_e32 v8, v21, v8
	v_add_f32_e32 v5, v5, v9
	s_delay_alu instid0(VALU_DEP_2) | instskip(SKIP_3) | instid1(VALU_DEP_1)
	v_fmac_f32_e32 v17, 0x3e9e377a, v8
	v_fmac_f32_e32 v15, 0xbf737871, v6
	v_fmac_f32_e32 v2, 0x3f167918, v19
	v_add_f32_e32 v19, v7, v11
	v_fmac_f32_e32 v3, -0.5, v19
	s_delay_alu instid0(VALU_DEP_1) | instskip(NEXT) | instid1(VALU_DEP_1)
	v_fmamk_f32 v19, v4, 0xbf737871, v3
	v_fmac_f32_e32 v19, 0x3f167918, v6
	v_fmac_f32_e32 v3, 0x3f737871, v4
	v_add_f32_e32 v21, v7, v10
	v_mul_lo_u16 v10, v13, 52
	v_fmac_f32_e32 v18, 0x3e9e377a, v22
	v_fmac_f32_e32 v15, 0xbf167918, v4
	v_mul_u32_u24_e32 v7, 0x320, v13
	v_fmac_f32_e32 v3, 0xbf167918, v6
	v_lshrrev_b16 v11, 8, v10
	s_delay_alu instid0(VALU_DEP_4) | instskip(SKIP_1) | instid1(VALU_DEP_3)
	v_dual_fmac_f32 v2, 0x3e9e377a, v22 :: v_dual_fmac_f32 v15, 0x3e9e377a, v8
	v_dual_fmac_f32 v19, 0x3e9e377a, v5 :: v_dual_lshlrev_b32 v22, 3, v12
	v_mul_lo_u16 v4, v11, 5
	s_delay_alu instid0(VALU_DEP_2) | instskip(NEXT) | instid1(VALU_DEP_2)
	v_add3_u32 v23, 0, v7, v22
	v_sub_nc_u16 v4, v13, v4
	s_delay_alu instid0(VALU_DEP_1)
	v_and_b32_e32 v24, 0xff, v4
	v_fmac_f32_e32 v3, 0x3e9e377a, v5
	ds_store_2addr_b64 v23, v[20:21], v[16:17] offset1:20
	ds_store_2addr_b64 v23, v[18:19], v[2:3] offset0:40 offset1:60
	ds_store_b64 v23, v[14:15] offset:640
	v_lshlrev_b32_e32 v2, 5, v24
	global_wb scope:SCOPE_SE
	s_wait_dscnt 0x0
	s_wait_kmcnt 0x0
	s_barrier_signal -1
	s_barrier_wait -1
	global_inv scope:SCOPE_SE
	s_clause 0x1
	global_load_b128 v[3:6], v2, s[10:11]
	global_load_b128 v[7:10], v2, s[10:11] offset:16
	v_mad_i32_i24 v2, 0xfffffd80, v13, v23
	ds_load_b64 v[14:15], v2 offset:4000
	ds_load_b64 v[16:17], v2 offset:8000
	;; [unrolled: 1-line block ×3, first 2 shown]
	v_and_b32_e32 v11, 0xffff, v11
	ds_load_b64 v[20:21], v2 offset:16000
	s_wait_loadcnt_dscnt 0x103
	v_mul_f32_e32 v25, v4, v15
	v_mul_f32_e32 v4, v4, v14
	v_mad_u32_u24 v11, v11, 25, v24
	s_wait_loadcnt_dscnt 0x1
	v_dual_mul_f32 v26, v6, v17 :: v_dual_mul_f32 v27, v8, v19
	v_dual_mul_f32 v6, v6, v16 :: v_dual_fmac_f32 v25, v3, v14
	s_delay_alu instid0(VALU_DEP_3) | instskip(SKIP_1) | instid1(VALU_DEP_4)
	v_mul_u32_u24_e32 v11, 0xa0, v11
	v_fma_f32 v3, v3, v15, -v4
	v_dual_fmac_f32 v27, v7, v18 :: v_dual_fmac_f32 v26, v5, v16
	v_mul_f32_e32 v8, v8, v18
	s_delay_alu instid0(VALU_DEP_4)
	v_add3_u32 v11, 0, v11, v22
	ds_load_2addr_b32 v[22:23], v2 offset1:1
	s_wait_dscnt 0x1
	v_mul_f32_e32 v28, v10, v21
	v_fma_f32 v4, v5, v17, -v6
	v_fma_f32 v6, v7, v19, -v8
	v_add_nc_u32_e32 v24, 0x400, v11
	v_mul_f32_e32 v10, v10, v20
	global_wb scope:SCOPE_SE
	s_wait_dscnt 0x0
	v_sub_f32_e32 v29, v3, v4
	v_sub_f32_e32 v15, v4, v6
	;; [unrolled: 1-line block ×3, first 2 shown]
	v_fma_f32 v10, v9, v21, -v10
	s_barrier_signal -1
	s_barrier_wait -1
	global_inv scope:SCOPE_SE
	v_add_f32_e32 v31, v3, v10
	v_sub_f32_e32 v30, v10, v6
	v_sub_f32_e32 v33, v6, v10
	v_add_f32_e32 v5, v25, v22
	v_dual_fmac_f32 v28, v9, v20 :: v_dual_add_f32 v19, v23, v3
	v_add_f32_e32 v20, v4, v6
	s_delay_alu instid0(VALU_DEP_2) | instskip(SKIP_4) | instid1(VALU_DEP_4)
	v_sub_f32_e32 v9, v28, v27
	v_dual_add_f32 v7, v26, v27 :: v_dual_sub_f32 v8, v25, v26
	v_dual_sub_f32 v17, v26, v25 :: v_dual_add_f32 v16, v25, v28
	v_dual_sub_f32 v14, v3, v10 :: v_dual_sub_f32 v21, v25, v28
	v_dual_sub_f32 v18, v27, v28 :: v_dual_sub_f32 v25, v26, v27
	v_dual_add_f32 v5, v5, v26 :: v_dual_add_f32 v26, v8, v9
	v_fma_f32 v3, -0.5, v7, v22
	v_fma_f32 v22, -0.5, v16, v22
	v_add_f32_e32 v8, v19, v4
	v_fma_f32 v4, -0.5, v20, v23
	v_dual_fmac_f32 v23, -0.5, v31 :: v_dual_add_f32 v16, v17, v18
	v_dual_add_f32 v17, v29, v30 :: v_dual_add_f32 v18, v32, v33
	v_add_f32_e32 v9, v5, v27
	v_fmamk_f32 v5, v14, 0xbf737871, v3
	v_fmac_f32_e32 v3, 0x3f737871, v14
	v_fmamk_f32 v7, v15, 0x3f737871, v22
	v_dual_fmac_f32 v22, 0xbf737871, v15 :: v_dual_add_f32 v19, v8, v6
	v_fmamk_f32 v6, v21, 0x3f737871, v4
	v_fmamk_f32 v8, v25, 0xbf737871, v23
	v_fmac_f32_e32 v23, 0x3f737871, v25
	v_dual_fmac_f32 v4, 0xbf737871, v21 :: v_dual_add_f32 v9, v9, v28
	v_fmac_f32_e32 v5, 0xbf167918, v15
	v_dual_fmac_f32 v3, 0x3f167918, v15 :: v_dual_fmac_f32 v22, 0x3f167918, v14
	v_fmac_f32_e32 v6, 0x3f167918, v25
	v_fmac_f32_e32 v7, 0xbf167918, v14
	v_add_f32_e32 v10, v19, v10
	v_fmac_f32_e32 v8, 0x3f167918, v21
	v_fmac_f32_e32 v23, 0xbf167918, v21
	v_fmac_f32_e32 v4, 0xbf167918, v25
	v_dual_fmac_f32 v5, 0x3e9e377a, v26 :: v_dual_fmac_f32 v22, 0x3e9e377a, v16
	v_dual_fmac_f32 v3, 0x3e9e377a, v26 :: v_dual_fmac_f32 v6, 0x3e9e377a, v17
	;; [unrolled: 1-line block ×3, first 2 shown]
	s_delay_alu instid0(VALU_DEP_4)
	v_dual_fmac_f32 v23, 0x3e9e377a, v18 :: v_dual_fmac_f32 v4, 0x3e9e377a, v17
	ds_store_2addr_b64 v11, v[9:10], v[5:6] offset1:100
	ds_store_2addr_b64 v24, v[7:8], v[22:23] offset0:72 offset1:172
	ds_store_b64 v11, v[3:4] offset:3200
	global_wb scope:SCOPE_SE
	s_wait_dscnt 0x0
	s_barrier_signal -1
	s_barrier_wait -1
	global_inv scope:SCOPE_SE
	s_and_saveexec_b32 s14, s16
	s_cbranch_execz .LBB0_6
; %bb.5:
	v_mul_lo_u16 v3, v13, 21
	v_and_b32_e32 v0, 0xffff, v0
	s_mul_u64 s[2:3], s[6:7], s[2:3]
	s_mul_u64 s[8:9], s[4:5], s[8:9]
	s_wait_alu 0xfffe
	s_lshl_b64 s[2:3], s[2:3], 3
	v_lshrrev_b16 v3, 9, v3
	v_mul_u32_u24_e32 v49, 0x20d, v0
	s_delay_alu instid0(VALU_DEP_2) | instskip(NEXT) | instid1(VALU_DEP_2)
	v_mul_lo_u16 v3, v3, 25
	v_lshrrev_b32_e32 v53, 18, v49
	s_delay_alu instid0(VALU_DEP_2) | instskip(NEXT) | instid1(VALU_DEP_2)
	v_sub_nc_u16 v3, v13, v3
	v_mul_lo_u16 v53, 0x7d, v53
	s_delay_alu instid0(VALU_DEP_2) | instskip(NEXT) | instid1(VALU_DEP_1)
	v_and_b32_e32 v11, 0xff, v3
	v_lshlrev_b32_e32 v7, 5, v11
	v_mul_lo_u32 v33, v1, v11
	v_add_nc_u32_e32 v13, 0x64, v11
	v_add_nc_u32_e32 v15, 50, v11
	;; [unrolled: 1-line block ×3, first 2 shown]
	s_clause 0x1
	global_load_b128 v[3:6], v7, s[10:11] offset:160
	global_load_b128 v[7:10], v7, s[10:11] offset:176
	s_load_b64 s[10:11], s[0:1], 0x8
	v_add_nc_u32_e32 v14, 0x4b, v11
	v_mul_lo_u32 v35, v1, v13
	v_and_b32_e32 v13, 0xff, v33
	v_mul_lo_u32 v37, v1, v15
	s_load_b64 s[0:1], s[0:1], 0x60
	v_mul_lo_u32 v36, v1, v14
	v_lshrrev_b32_e32 v14, 5, v33
	v_lshlrev_b32_e32 v13, 3, v13
	v_mul_lo_u32 v1, v1, v16
	v_and_b32_e32 v17, 0xff, v35
	v_lshrrev_b32_e32 v18, 5, v35
	v_and_b32_e32 v15, 0x7f8, v14
	v_lshrrev_b32_e32 v33, 13, v33
	;; [unrolled: 2-line block ×4, first 2 shown]
	v_and_b32_e32 v23, 0xff, v1
	s_wait_kmcnt 0x0
	s_clause 0x1
	global_load_b64 v[13:14], v13, s[10:11]
	global_load_b64 v[15:16], v15, s[10:11] offset:2048
	v_lshrrev_b32_e32 v24, 5, v1
	v_lshlrev_b32_e32 v17, 3, v17
	v_and_b32_e32 v25, 0x7f8, v18
	v_and_b32_e32 v33, 0x7f8, v33
	v_lshlrev_b32_e32 v26, 3, v19
	v_and_b32_e32 v27, 0x7f8, v20
	v_lshlrev_b32_e32 v28, 3, v21
	;; [unrolled: 2-line block ×3, first 2 shown]
	v_and_b32_e32 v31, 0x7f8, v24
	s_clause 0x8
	global_load_b64 v[17:18], v17, s[10:11]
	global_load_b64 v[19:20], v25, s[10:11] offset:2048
	global_load_b64 v[21:22], v26, s[10:11]
	global_load_b64 v[23:24], v27, s[10:11] offset:2048
	;; [unrolled: 2-line block ×4, first 2 shown]
	global_load_b64 v[33:34], v33, s[10:11] offset:4096
	v_lshrrev_b32_e32 v35, 13, v35
	v_lshrrev_b32_e32 v36, 13, v36
	v_lshrrev_b32_e32 v37, 13, v37
	v_lshrrev_b32_e32 v1, 13, v1
	s_delay_alu instid0(VALU_DEP_4) | instskip(NEXT) | instid1(VALU_DEP_4)
	v_and_b32_e32 v35, 0x7f8, v35
	v_and_b32_e32 v38, 0x7f8, v36
	s_delay_alu instid0(VALU_DEP_4) | instskip(NEXT) | instid1(VALU_DEP_4)
	v_and_b32_e32 v39, 0x7f8, v37
	v_and_b32_e32 v1, 0x7f8, v1
	s_clause 0x3
	global_load_b64 v[35:36], v35, s[10:11] offset:4096
	global_load_b64 v[37:38], v38, s[10:11] offset:4096
	;; [unrolled: 1-line block ×4, first 2 shown]
	v_mad_co_u64_u32 v[0:1], null, s4, v12, 0
	ds_load_b64 v[43:44], v2 offset:16000
	ds_load_b64 v[45:46], v2 offset:8000
	;; [unrolled: 1-line block ×4, first 2 shown]
	ds_load_2addr_b32 v[51:52], v2 offset1:1
                                        ; kill: def $vgpr2 killed $sgpr0 killed $exec
	s_add_nc_u64 s[0:1], s[0:1], s[2:3]
	v_mad_co_u64_u32 v[1:2], null, s5, v12, v[1:2]
	v_and_b32_e32 v2, 0xffff, v53
	s_lshl_b64 s[4:5], s[8:9], 3
	s_wait_alu 0xfffe
	s_add_nc_u64 s[0:1], s[0:1], s[4:5]
	s_delay_alu instid0(VALU_DEP_1) | instskip(NEXT) | instid1(VALU_DEP_3)
	v_add_nc_u32_e32 v61, v11, v2
	v_lshlrev_b64_e32 v[0:1], 3, v[0:1]
	s_delay_alu instid0(VALU_DEP_2) | instskip(SKIP_4) | instid1(VALU_DEP_4)
	v_mad_co_u64_u32 v[11:12], null, s12, v61, 0
	v_add_nc_u32_e32 v63, 25, v61
	v_add_nc_u32_e32 v64, 50, v61
	;; [unrolled: 1-line block ×4, first 2 shown]
	v_mad_co_u64_u32 v[53:54], null, s12, v63, 0
	s_delay_alu instid0(VALU_DEP_4) | instskip(SKIP_3) | instid1(VALU_DEP_4)
	v_mad_co_u64_u32 v[55:56], null, s12, v64, 0
	v_mov_b32_e32 v2, v12
	v_mad_co_u64_u32 v[57:58], null, s12, v65, 0
	v_mad_co_u64_u32 v[59:60], null, s12, v66, 0
	v_mov_b32_e32 v12, v56
	s_delay_alu instid0(VALU_DEP_2) | instskip(SKIP_4) | instid1(VALU_DEP_2)
	v_mov_b32_e32 v56, v60
	s_wait_loadcnt 0x10
	v_mad_co_u64_u32 v[61:62], null, s13, v61, v[2:3]
	v_mov_b32_e32 v2, v54
	v_mov_b32_e32 v54, v58
	v_mad_co_u64_u32 v[62:63], null, s13, v63, v[2:3]
	v_add_co_u32 v2, vcc_lo, s0, v0
	s_wait_loadcnt 0xe
	v_mad_co_u64_u32 v[63:64], null, s13, v64, v[12:13]
	v_mov_b32_e32 v12, v61
	v_mad_co_u64_u32 v[64:65], null, s13, v65, v[54:55]
	v_mov_b32_e32 v54, v62
	v_mad_co_u64_u32 v[65:66], null, s13, v66, v[56:57]
	s_wait_alu 0xfffd
	v_add_co_ci_u32_e32 v66, vcc_lo, s1, v1, vcc_lo
	v_lshlrev_b64_e32 v[0:1], 3, v[11:12]
	v_mov_b32_e32 v56, v63
	v_lshlrev_b64_e32 v[11:12], 3, v[53:54]
	v_mov_b32_e32 v58, v64
	s_wait_dscnt 0x2
	v_dual_mov_b32 v60, v65 :: v_dual_mul_f32 v61, v8, v47
	v_lshlrev_b64_e32 v[53:54], 3, v[55:56]
	v_add_co_u32 v0, vcc_lo, v2, v0
	s_wait_alu 0xfffd
	v_add_co_ci_u32_e32 v1, vcc_lo, v66, v1, vcc_lo
	v_lshlrev_b64_e32 v[55:56], 3, v[57:58]
	v_add_co_u32 v11, vcc_lo, v2, v11
	s_wait_alu 0xfffd
	v_add_co_ci_u32_e32 v12, vcc_lo, v66, v12, vcc_lo
	;; [unrolled: 4-line block ×3, first 2 shown]
	v_add_co_u32 v55, vcc_lo, v2, v55
	s_wait_alu 0xfffd
	v_add_co_ci_u32_e32 v56, vcc_lo, v66, v56, vcc_lo
	v_add_co_u32 v57, vcc_lo, v2, v57
	s_wait_dscnt 0x1
	v_mul_f32_e32 v2, v4, v49
	v_mul_f32_e32 v59, v6, v45
	v_mul_f32_e32 v60, v10, v43
	v_mul_f32_e32 v4, v4, v50
	v_mul_f32_e32 v10, v10, v44
	v_mul_f32_e32 v6, v6, v46
	v_mul_f32_e32 v8, v8, v48
	v_fma_f32 v2, v3, v50, -v2
	v_fma_f32 v46, v5, v46, -v59
	;; [unrolled: 1-line block ×4, first 2 shown]
	v_fmac_f32_e32 v4, v3, v49
	v_fmac_f32_e32 v10, v9, v43
	;; [unrolled: 1-line block ×3, first 2 shown]
	s_delay_alu instid0(VALU_DEP_4) | instskip(SKIP_2) | instid1(VALU_DEP_4)
	v_dual_fmac_f32 v8, v7, v47 :: v_dual_sub_f32 v49, v46, v48
	v_sub_f32_e32 v3, v2, v46
	v_sub_f32_e32 v5, v44, v48
	;; [unrolled: 1-line block ×3, first 2 shown]
	s_delay_alu instid0(VALU_DEP_4)
	v_sub_f32_e32 v47, v10, v8
	v_add_f32_e32 v62, v2, v44
	s_wait_alu 0xfffd
	v_add_co_ci_u32_e32 v58, vcc_lo, v66, v58, vcc_lo
	v_add_f32_e32 v7, v46, v48
	v_sub_f32_e32 v9, v4, v10
	v_sub_f32_e32 v43, v6, v8
	v_add_f32_e32 v50, v6, v8
	v_dual_sub_f32 v59, v2, v44 :: v_dual_sub_f32 v64, v8, v10
	v_sub_f32_e32 v60, v46, v2
	s_wait_dscnt 0x0
	v_dual_sub_f32 v63, v6, v4 :: v_dual_add_f32 v2, v52, v2
	v_sub_f32_e32 v61, v48, v44
	s_wait_loadcnt 0xd
	v_dual_add_f32 v65, v4, v10 :: v_dual_mul_f32 v66, v14, v16
	v_dual_add_f32 v4, v4, v51 :: v_dual_add_f32 v3, v3, v5
	v_add_f32_e32 v5, v45, v47
	v_fma_f32 v47, -0.5, v62, v52
	v_fma_f32 v67, -0.5, v7, v52
	;; [unrolled: 1-line block ×3, first 2 shown]
	v_add_f32_e32 v50, v63, v64
	v_fma_f32 v51, -0.5, v65, v51
	v_add_f32_e32 v2, v2, v46
	v_dual_mul_f32 v16, v13, v16 :: v_dual_add_f32 v7, v60, v61
	v_add_f32_e32 v4, v4, v6
	s_wait_loadcnt 0xb
	v_dual_mul_f32 v6, v18, v20 :: v_dual_fmamk_f32 v61, v43, 0x3f737871, v47
	s_wait_loadcnt 0x9
	v_mul_f32_e32 v46, v22, v24
	v_fma_f32 v13, v13, v15, -v66
	v_dual_mul_f32 v20, v17, v20 :: v_dual_fmac_f32 v47, 0xbf737871, v43
	v_mul_f32_e32 v24, v21, v24
	s_wait_loadcnt 0x7
	v_mul_f32_e32 v52, v26, v28
	s_wait_loadcnt 0x5
	v_mul_f32_e32 v60, v30, v32
	v_dual_fmac_f32 v16, v14, v15 :: v_dual_fmac_f32 v61, 0xbf167918, v9
	v_dual_mul_f32 v28, v25, v28 :: v_dual_fmamk_f32 v15, v59, 0x3f737871, v45
	v_mul_f32_e32 v32, v29, v32
	v_fmamk_f32 v62, v49, 0xbf737871, v51
	v_dual_fmac_f32 v51, 0x3f737871, v49 :: v_dual_add_f32 v4, v4, v8
	v_fma_f32 v8, v21, v23, -v46
	s_wait_loadcnt 0x4
	v_mul_f32_e32 v21, v13, v34
	v_fmac_f32_e32 v45, 0xbf737871, v59
	v_fmac_f32_e32 v51, 0xbf167918, v59
	v_fma_f32 v6, v17, v19, -v6
	v_dual_fmac_f32 v20, v18, v19 :: v_dual_mul_f32 v19, v16, v34
	s_delay_alu instid0(VALU_DEP_4)
	v_fmac_f32_e32 v45, 0xbf167918, v49
	v_dual_fmac_f32 v15, 0x3f167918, v49 :: v_dual_fmac_f32 v32, v30, v31
	v_dual_fmac_f32 v21, v33, v16 :: v_dual_fmac_f32 v28, v26, v27
	v_dual_add_f32 v2, v2, v48 :: v_dual_fmac_f32 v47, 0x3f167918, v9
	v_fmamk_f32 v14, v9, 0xbf737871, v67
	v_fmac_f32_e32 v67, 0x3f737871, v9
	v_fma_f32 v17, v25, v27, -v52
	s_delay_alu instid0(VALU_DEP_4)
	v_add_f32_e32 v9, v2, v44
	v_fma_f32 v18, v29, v31, -v60
	s_wait_loadcnt 0x0
	v_dual_mul_f32 v27, v32, v42 :: v_dual_fmac_f32 v24, v22, v23
	v_mul_f32_e32 v25, v28, v40
	v_dual_mul_f32 v23, v8, v38 :: v_dual_fmac_f32 v62, 0x3f167918, v59
	v_dual_fmac_f32 v14, 0xbf167918, v43 :: v_dual_mul_f32 v29, v18, v42
	v_dual_fmac_f32 v67, 0x3f167918, v43 :: v_dual_add_f32 v10, v4, v10
	v_dual_mul_f32 v4, v6, v36 :: v_dual_fmac_f32 v61, 0x3e9e377a, v7
	v_dual_mul_f32 v26, v17, v40 :: v_dual_fmac_f32 v51, 0x3e9e377a, v50
	v_dual_fmac_f32 v23, v37, v24 :: v_dual_fmac_f32 v62, 0x3e9e377a, v50
	s_delay_alu instid0(VALU_DEP_4)
	v_dual_fmac_f32 v67, 0x3e9e377a, v3 :: v_dual_mul_f32 v2, v20, v36
	v_dual_fmac_f32 v15, 0x3e9e377a, v5 :: v_dual_mul_f32 v22, v24, v38
	v_fmac_f32_e32 v47, 0x3e9e377a, v7
	v_dual_fmac_f32 v14, 0x3e9e377a, v3 :: v_dual_fmac_f32 v45, 0x3e9e377a, v5
	v_dual_fmac_f32 v4, v35, v20 :: v_dual_mul_f32 v3, v10, v21
	v_dual_fmac_f32 v26, v39, v28 :: v_dual_mul_f32 v7, v62, v23
	v_fmac_f32_e32 v29, v41, v32
	v_fma_f32 v19, v33, v13, -v19
	v_fma_f32 v16, v35, v6, -v2
	v_dual_mul_f32 v2, v9, v21 :: v_dual_mul_f32 v5, v15, v4
	v_fma_f32 v20, v37, v8, -v22
	v_fma_f32 v18, v41, v18, -v27
	v_mul_f32_e32 v8, v47, v26
	v_dual_mul_f32 v6, v61, v23 :: v_dual_mul_f32 v13, v67, v29
	v_mul_f32_e32 v22, v45, v29
	v_fma_f32 v17, v39, v17, -v25
	v_dual_mul_f32 v4, v14, v4 :: v_dual_mul_f32 v21, v51, v26
	v_fma_f32 v3, v9, v19, -v3
	v_dual_fmac_f32 v2, v10, v19 :: v_dual_fmac_f32 v13, v45, v18
	v_fma_f32 v5, v14, v16, -v5
	v_fma_f32 v14, v67, v18, -v22
	;; [unrolled: 1-line block ×3, first 2 shown]
	v_fmac_f32_e32 v8, v51, v17
	v_fma_f32 v7, v61, v20, -v7
	v_fmac_f32_e32 v6, v62, v20
	v_fmac_f32_e32 v4, v15, v16
	s_clause 0x4
	global_store_b64 v[0:1], v[2:3], off
	global_store_b64 v[11:12], v[13:14], off
	;; [unrolled: 1-line block ×5, first 2 shown]
.LBB0_6:
	s_nop 0
	s_sendmsg sendmsg(MSG_DEALLOC_VGPRS)
	s_endpgm
	.section	.rodata,"a",@progbits
	.p2align	6, 0x0
	.amdhsa_kernel fft_rtc_back_len125_factors_5_5_5_wgs_500_tpt_25_dim2_sp_op_CI_CI_sbcc_twdbase8_3step_dirReg
		.amdhsa_group_segment_fixed_size 0
		.amdhsa_private_segment_fixed_size 0
		.amdhsa_kernarg_size 104
		.amdhsa_user_sgpr_count 2
		.amdhsa_user_sgpr_dispatch_ptr 0
		.amdhsa_user_sgpr_queue_ptr 0
		.amdhsa_user_sgpr_kernarg_segment_ptr 1
		.amdhsa_user_sgpr_dispatch_id 0
		.amdhsa_user_sgpr_private_segment_size 0
		.amdhsa_wavefront_size32 1
		.amdhsa_uses_dynamic_stack 0
		.amdhsa_enable_private_segment 0
		.amdhsa_system_sgpr_workgroup_id_x 1
		.amdhsa_system_sgpr_workgroup_id_y 0
		.amdhsa_system_sgpr_workgroup_id_z 0
		.amdhsa_system_sgpr_workgroup_info 0
		.amdhsa_system_vgpr_workitem_id 0
		.amdhsa_next_free_vgpr 68
		.amdhsa_next_free_sgpr 24
		.amdhsa_reserve_vcc 1
		.amdhsa_float_round_mode_32 0
		.amdhsa_float_round_mode_16_64 0
		.amdhsa_float_denorm_mode_32 3
		.amdhsa_float_denorm_mode_16_64 3
		.amdhsa_fp16_overflow 0
		.amdhsa_workgroup_processor_mode 1
		.amdhsa_memory_ordered 1
		.amdhsa_forward_progress 0
		.amdhsa_round_robin_scheduling 0
		.amdhsa_exception_fp_ieee_invalid_op 0
		.amdhsa_exception_fp_denorm_src 0
		.amdhsa_exception_fp_ieee_div_zero 0
		.amdhsa_exception_fp_ieee_overflow 0
		.amdhsa_exception_fp_ieee_underflow 0
		.amdhsa_exception_fp_ieee_inexact 0
		.amdhsa_exception_int_div_zero 0
	.end_amdhsa_kernel
	.text
.Lfunc_end0:
	.size	fft_rtc_back_len125_factors_5_5_5_wgs_500_tpt_25_dim2_sp_op_CI_CI_sbcc_twdbase8_3step_dirReg, .Lfunc_end0-fft_rtc_back_len125_factors_5_5_5_wgs_500_tpt_25_dim2_sp_op_CI_CI_sbcc_twdbase8_3step_dirReg
                                        ; -- End function
	.section	.AMDGPU.csdata,"",@progbits
; Kernel info:
; codeLenInByte = 4072
; NumSgprs: 26
; NumVgprs: 68
; ScratchSize: 0
; MemoryBound: 0
; FloatMode: 240
; IeeeMode: 1
; LDSByteSize: 0 bytes/workgroup (compile time only)
; SGPRBlocks: 3
; VGPRBlocks: 8
; NumSGPRsForWavesPerEU: 26
; NumVGPRsForWavesPerEU: 68
; Occupancy: 16
; WaveLimiterHint : 1
; COMPUTE_PGM_RSRC2:SCRATCH_EN: 0
; COMPUTE_PGM_RSRC2:USER_SGPR: 2
; COMPUTE_PGM_RSRC2:TRAP_HANDLER: 0
; COMPUTE_PGM_RSRC2:TGID_X_EN: 1
; COMPUTE_PGM_RSRC2:TGID_Y_EN: 0
; COMPUTE_PGM_RSRC2:TGID_Z_EN: 0
; COMPUTE_PGM_RSRC2:TIDIG_COMP_CNT: 0
	.text
	.p2alignl 7, 3214868480
	.fill 96, 4, 3214868480
	.type	__hip_cuid_7f24e339e9cc12b0,@object ; @__hip_cuid_7f24e339e9cc12b0
	.section	.bss,"aw",@nobits
	.globl	__hip_cuid_7f24e339e9cc12b0
__hip_cuid_7f24e339e9cc12b0:
	.byte	0                               ; 0x0
	.size	__hip_cuid_7f24e339e9cc12b0, 1

	.ident	"AMD clang version 19.0.0git (https://github.com/RadeonOpenCompute/llvm-project roc-6.4.0 25133 c7fe45cf4b819c5991fe208aaa96edf142730f1d)"
	.section	".note.GNU-stack","",@progbits
	.addrsig
	.addrsig_sym __hip_cuid_7f24e339e9cc12b0
	.amdgpu_metadata
---
amdhsa.kernels:
  - .args:
      - .actual_access:  read_only
        .address_space:  global
        .offset:         0
        .size:           8
        .value_kind:     global_buffer
      - .address_space:  global
        .offset:         8
        .size:           8
        .value_kind:     global_buffer
      - .actual_access:  read_only
        .address_space:  global
        .offset:         16
        .size:           8
        .value_kind:     global_buffer
      - .actual_access:  read_only
        .address_space:  global
        .offset:         24
        .size:           8
        .value_kind:     global_buffer
      - .actual_access:  read_only
        .address_space:  global
        .offset:         32
        .size:           8
        .value_kind:     global_buffer
      - .offset:         40
        .size:           8
        .value_kind:     by_value
      - .actual_access:  read_only
        .address_space:  global
        .offset:         48
        .size:           8
        .value_kind:     global_buffer
      - .actual_access:  read_only
        .address_space:  global
        .offset:         56
        .size:           8
        .value_kind:     global_buffer
      - .offset:         64
        .size:           4
        .value_kind:     by_value
      - .actual_access:  read_only
        .address_space:  global
        .offset:         72
        .size:           8
        .value_kind:     global_buffer
      - .actual_access:  read_only
        .address_space:  global
        .offset:         80
        .size:           8
        .value_kind:     global_buffer
      - .actual_access:  read_only
        .address_space:  global
        .offset:         88
        .size:           8
        .value_kind:     global_buffer
      - .actual_access:  write_only
        .address_space:  global
        .offset:         96
        .size:           8
        .value_kind:     global_buffer
    .group_segment_fixed_size: 0
    .kernarg_segment_align: 8
    .kernarg_segment_size: 104
    .language:       OpenCL C
    .language_version:
      - 2
      - 0
    .max_flat_workgroup_size: 500
    .name:           fft_rtc_back_len125_factors_5_5_5_wgs_500_tpt_25_dim2_sp_op_CI_CI_sbcc_twdbase8_3step_dirReg
    .private_segment_fixed_size: 0
    .sgpr_count:     26
    .sgpr_spill_count: 0
    .symbol:         fft_rtc_back_len125_factors_5_5_5_wgs_500_tpt_25_dim2_sp_op_CI_CI_sbcc_twdbase8_3step_dirReg.kd
    .uniform_work_group_size: 1
    .uses_dynamic_stack: false
    .vgpr_count:     68
    .vgpr_spill_count: 0
    .wavefront_size: 32
    .workgroup_processor_mode: 1
amdhsa.target:   amdgcn-amd-amdhsa--gfx1201
amdhsa.version:
  - 1
  - 2
...

	.end_amdgpu_metadata
